;; amdgpu-corpus repo=ROCm/rocFFT kind=compiled arch=gfx1201 opt=O3
	.text
	.amdgcn_target "amdgcn-amd-amdhsa--gfx1201"
	.amdhsa_code_object_version 6
	.protected	fft_rtc_back_len168_factors_3_4_7_2_wgs_196_tpt_14_dim3_sp_ip_CI_sbcc_twdbase8_3step_dirReg_intrinsicReadWrite ; -- Begin function fft_rtc_back_len168_factors_3_4_7_2_wgs_196_tpt_14_dim3_sp_ip_CI_sbcc_twdbase8_3step_dirReg_intrinsicReadWrite
	.globl	fft_rtc_back_len168_factors_3_4_7_2_wgs_196_tpt_14_dim3_sp_ip_CI_sbcc_twdbase8_3step_dirReg_intrinsicReadWrite
	.p2align	8
	.type	fft_rtc_back_len168_factors_3_4_7_2_wgs_196_tpt_14_dim3_sp_ip_CI_sbcc_twdbase8_3step_dirReg_intrinsicReadWrite,@function
fft_rtc_back_len168_factors_3_4_7_2_wgs_196_tpt_14_dim3_sp_ip_CI_sbcc_twdbase8_3step_dirReg_intrinsicReadWrite: ; @fft_rtc_back_len168_factors_3_4_7_2_wgs_196_tpt_14_dim3_sp_ip_CI_sbcc_twdbase8_3step_dirReg_intrinsicReadWrite
; %bb.0:
	s_load_b128 s[4:7], s[0:1], 0x10
	s_mov_b32 s11, 0
	s_mov_b32 s2, 0x49240800
	;; [unrolled: 1-line block ×4, first 2 shown]
	s_delay_alu instid0(SALU_CYCLE_1) | instskip(NEXT) | instid1(SALU_CYCLE_1)
	s_add_nc_u64 s[2:3], s[10:11], s[2:3]
	s_add_co_i32 s3, s3, 0x12492460
	s_delay_alu instid0(SALU_CYCLE_1) | instskip(NEXT) | instid1(SALU_CYCLE_1)
	s_mul_u64 s[12:13], s[2:3], -14
	s_mul_hi_u32 s15, s2, s13
	s_mul_i32 s14, s2, s13
	s_mul_hi_u32 s10, s2, s12
	s_mul_i32 s17, s3, s12
	s_add_nc_u64 s[14:15], s[10:11], s[14:15]
	s_mul_hi_u32 s16, s3, s12
	s_mul_hi_u32 s18, s3, s13
	s_add_co_u32 s10, s14, s17
	s_wait_kmcnt 0x0
	s_load_b64 s[8:9], s[4:5], 0x8
	s_add_co_ci_u32 s10, s15, s16
	s_mul_i32 s12, s3, s13
	s_add_co_ci_u32 s13, s18, 0
	s_delay_alu instid0(SALU_CYCLE_1) | instskip(NEXT) | instid1(SALU_CYCLE_1)
	s_add_nc_u64 s[12:13], s[10:11], s[12:13]
	v_add_co_u32 v1, s2, s2, s12
	s_delay_alu instid0(VALU_DEP_1) | instskip(SKIP_1) | instid1(VALU_DEP_1)
	s_cmp_lg_u32 s2, 0
	s_add_co_ci_u32 s14, s3, s13
	v_readfirstlane_b32 s15, v1
	s_wait_kmcnt 0x0
	s_add_nc_u64 s[2:3], s[8:9], -1
	s_wait_alu 0xfffe
	s_mul_hi_u32 s13, s2, s14
	s_mul_i32 s12, s2, s14
	s_mul_hi_u32 s10, s2, s15
	s_mul_hi_u32 s17, s3, s15
	s_mul_i32 s15, s3, s15
	s_wait_alu 0xfffe
	s_add_nc_u64 s[12:13], s[10:11], s[12:13]
	s_mul_hi_u32 s16, s3, s14
	s_wait_alu 0xfffe
	s_add_co_u32 s10, s12, s15
	s_add_co_ci_u32 s10, s13, s17
	s_mul_i32 s14, s3, s14
	s_add_co_ci_u32 s15, s16, 0
	s_delay_alu instid0(SALU_CYCLE_1) | instskip(SKIP_2) | instid1(SALU_CYCLE_1)
	s_add_nc_u64 s[12:13], s[10:11], s[14:15]
	s_wait_alu 0xfffe
	s_mul_u64 s[14:15], s[12:13], 14
	v_sub_co_u32 v1, s2, s2, s14
	s_delay_alu instid0(VALU_DEP_1) | instskip(SKIP_1) | instid1(VALU_DEP_1)
	s_cmp_lg_u32 s2, 0
	s_sub_co_ci_u32 s16, s3, s15
	v_sub_co_u32 v2, s10, v1, 14
	s_delay_alu instid0(VALU_DEP_1) | instskip(SKIP_2) | instid1(VALU_DEP_1)
	s_cmp_lg_u32 s10, 0
	s_add_nc_u64 s[14:15], s[12:13], 2
	s_sub_co_ci_u32 s10, s16, 0
	v_readfirstlane_b32 s2, v2
	s_delay_alu instid0(VALU_DEP_1)
	s_cmp_gt_u32 s2, 13
	s_add_nc_u64 s[2:3], s[12:13], 1
	s_cselect_b32 s17, -1, 0
	s_cmp_eq_u32 s10, 0
	s_cselect_b32 s10, s17, -1
	v_readfirstlane_b32 s17, v1
	s_cmp_lg_u32 s10, 0
	s_wait_alu 0xfffe
	s_cselect_b32 s2, s14, s2
	s_cselect_b32 s3, s15, s3
	s_cmp_gt_u32 s17, 13
	s_cselect_b32 s10, -1, 0
	s_cmp_eq_u32 s16, 0
	s_mov_b64 s[16:17], 0
	s_cselect_b32 s10, s10, -1
	s_delay_alu instid0(SALU_CYCLE_1)
	s_cmp_lg_u32 s10, 0
	s_mov_b32 s10, ttmp9
	s_wait_alu 0xfffe
	s_cselect_b32 s3, s3, s13
	s_cselect_b32 s2, s2, s12
	s_wait_alu 0xfffe
	s_add_nc_u64 s[12:13], s[2:3], 1
	s_wait_alu 0xfffe
	v_cmp_lt_u64_e64 s2, s[10:11], s[12:13]
	s_delay_alu instid0(VALU_DEP_1)
	s_and_b32 vcc_lo, exec_lo, s2
	s_cbranch_vccnz .LBB0_2
; %bb.1:
	v_cvt_f32_u32_e32 v1, s12
	s_sub_co_i32 s3, 0, s12
	s_mov_b32 s17, s11
	s_delay_alu instid0(VALU_DEP_1) | instskip(NEXT) | instid1(TRANS32_DEP_1)
	v_rcp_iflag_f32_e32 v1, v1
	v_mul_f32_e32 v1, 0x4f7ffffe, v1
	s_delay_alu instid0(VALU_DEP_1) | instskip(NEXT) | instid1(VALU_DEP_1)
	v_cvt_u32_f32_e32 v1, v1
	v_readfirstlane_b32 s2, v1
	s_wait_alu 0xfffe
	s_delay_alu instid0(VALU_DEP_1)
	s_mul_i32 s3, s3, s2
	s_wait_alu 0xfffe
	s_mul_hi_u32 s3, s2, s3
	s_wait_alu 0xfffe
	s_add_co_i32 s2, s2, s3
	s_wait_alu 0xfffe
	s_mul_hi_u32 s2, s10, s2
	s_wait_alu 0xfffe
	s_mul_i32 s3, s2, s12
	s_add_co_i32 s14, s2, 1
	s_wait_alu 0xfffe
	s_sub_co_i32 s3, s10, s3
	s_wait_alu 0xfffe
	s_sub_co_i32 s15, s3, s12
	s_cmp_ge_u32 s3, s12
	s_cselect_b32 s2, s14, s2
	s_wait_alu 0xfffe
	s_cselect_b32 s3, s15, s3
	s_add_co_i32 s14, s2, 1
	s_wait_alu 0xfffe
	s_cmp_ge_u32 s3, s12
	s_cselect_b32 s16, s14, s2
.LBB0_2:
	s_load_b64 s[22:23], s[4:5], 0x10
	s_load_b64 s[14:15], s[6:7], 0x8
	s_mov_b64 s[18:19], s[16:17]
	s_wait_kmcnt 0x0
	v_cmp_lt_u64_e64 s2, s[16:17], s[22:23]
	s_delay_alu instid0(VALU_DEP_1)
	s_and_b32 vcc_lo, exec_lo, s2
	s_cbranch_vccnz .LBB0_4
; %bb.3:
	v_cvt_f32_u32_e32 v1, s22
	s_sub_co_i32 s3, 0, s22
	s_mov_b32 s19, 0
	s_delay_alu instid0(VALU_DEP_1) | instskip(NEXT) | instid1(TRANS32_DEP_1)
	v_rcp_iflag_f32_e32 v1, v1
	v_mul_f32_e32 v1, 0x4f7ffffe, v1
	s_delay_alu instid0(VALU_DEP_1) | instskip(NEXT) | instid1(VALU_DEP_1)
	v_cvt_u32_f32_e32 v1, v1
	v_readfirstlane_b32 s2, v1
	s_wait_alu 0xfffe
	s_delay_alu instid0(VALU_DEP_1)
	s_mul_i32 s3, s3, s2
	s_wait_alu 0xfffe
	s_mul_hi_u32 s3, s2, s3
	s_wait_alu 0xfffe
	s_add_co_i32 s2, s2, s3
	s_wait_alu 0xfffe
	s_mul_hi_u32 s2, s16, s2
	s_wait_alu 0xfffe
	s_mul_i32 s2, s2, s22
	s_wait_alu 0xfffe
	s_sub_co_i32 s2, s16, s2
	s_wait_alu 0xfffe
	s_sub_co_i32 s3, s2, s22
	s_cmp_ge_u32 s2, s22
	s_wait_alu 0xfffe
	s_cselect_b32 s2, s3, s2
	s_wait_alu 0xfffe
	s_sub_co_i32 s3, s2, s22
	s_cmp_ge_u32 s2, s22
	s_wait_alu 0xfffe
	s_cselect_b32 s18, s3, s2
.LBB0_4:
	s_load_b64 s[2:3], s[0:1], 0x50
	s_clause 0x1
	s_load_b64 s[4:5], s[6:7], 0x0
	s_load_b64 s[20:21], s[6:7], 0x10
	s_mul_u64 s[24:25], s[22:23], s[12:13]
	s_mov_b64 s[22:23], 0
	s_wait_kmcnt 0x0
	v_cmp_lt_u64_e64 s5, s[10:11], s[24:25]
	s_delay_alu instid0(VALU_DEP_1)
	s_and_b32 vcc_lo, exec_lo, s5
	s_cbranch_vccnz .LBB0_6
; %bb.5:
	v_cvt_f32_u32_e32 v1, s24
	s_sub_co_i32 s22, 0, s24
	s_delay_alu instid0(VALU_DEP_1) | instskip(NEXT) | instid1(TRANS32_DEP_1)
	v_rcp_iflag_f32_e32 v1, v1
	v_mul_f32_e32 v1, 0x4f7ffffe, v1
	s_delay_alu instid0(VALU_DEP_1) | instskip(NEXT) | instid1(VALU_DEP_1)
	v_cvt_u32_f32_e32 v1, v1
	v_readfirstlane_b32 s5, v1
	s_wait_alu 0xfffe
	s_delay_alu instid0(VALU_DEP_1) | instskip(SKIP_4) | instid1(SALU_CYCLE_1)
	s_mul_i32 s22, s22, s5
	s_wait_alu 0xfffe
	s_mul_hi_u32 s22, s5, s22
	s_wait_alu 0xfffe
	s_add_co_i32 s5, s5, s22
	s_mul_hi_u32 s5, s10, s5
	s_delay_alu instid0(SALU_CYCLE_1)
	s_mul_i32 s22, s5, s24
	s_add_co_i32 s23, s5, 1
	s_wait_alu 0xfffe
	s_sub_co_i32 s22, s10, s22
	s_wait_alu 0xfffe
	s_sub_co_i32 s25, s22, s24
	s_cmp_ge_u32 s22, s24
	s_cselect_b32 s5, s23, s5
	s_wait_alu 0xfffe
	s_cselect_b32 s22, s25, s22
	s_add_co_i32 s25, s5, 1
	s_wait_alu 0xfffe
	s_cmp_ge_u32 s22, s24
	s_mov_b32 s23, 0
	s_cselect_b32 s22, s25, s5
.LBB0_6:
	v_mul_u32_u24_e32 v1, 0x124a, v0
	s_load_b64 s[6:7], s[6:7], 0x18
	s_mul_u64 s[12:13], s[16:17], s[12:13]
	v_mov_b32_e32 v10, 0
	s_wait_alu 0xfffe
	s_sub_nc_u64 s[10:11], s[10:11], s[12:13]
	v_lshrrev_b32_e32 v33, 16, v1
	s_wait_alu 0xfffe
	s_mul_u64 s[10:11], s[10:11], 14
	s_mul_u64 s[12:13], s[20:21], s[18:19]
	s_wait_alu 0xfffe
	s_add_nc_u64 s[18:19], s[10:11], 14
	s_mul_u64 s[16:17], s[14:15], s[10:11]
	v_mul_lo_u16 v1, v33, 14
	s_wait_alu 0xfffe
	s_add_nc_u64 s[12:13], s[12:13], s[16:17]
	s_delay_alu instid0(VALU_DEP_1) | instskip(NEXT) | instid1(VALU_DEP_1)
	v_sub_nc_u16 v1, v0, v1
	v_and_b32_e32 v27, 0xffff, v1
	s_wait_kmcnt 0x0
	s_mul_u64 s[6:7], s[6:7], s[22:23]
	s_wait_alu 0xfffe
	s_add_nc_u64 s[6:7], s[6:7], s[12:13]
	v_mad_co_u64_u32 v[1:2], null, s14, v27, 0
	s_delay_alu instid0(VALU_DEP_1) | instskip(SKIP_1) | instid1(VALU_DEP_1)
	v_mov_b32_e32 v4, v2
	v_add_co_u32 v2, s5, s10, v27
	v_add_co_ci_u32_e64 v3, null, s11, 0, s5
	v_cmp_le_u64_e64 s5, s[18:19], s[8:9]
	s_delay_alu instid0(VALU_DEP_4) | instskip(NEXT) | instid1(VALU_DEP_3)
	v_mad_co_u64_u32 v[4:5], null, s15, v27, v[4:5]
	v_cmp_gt_u64_e32 vcc_lo, s[8:9], v[2:3]
	v_dual_mov_b32 v4, 0 :: v_dual_mov_b32 v3, 0
	s_delay_alu instid0(VALU_DEP_4)
	s_or_b32 s5, s5, vcc_lo
	s_wait_alu 0xfffe
	s_and_saveexec_b32 s7, s5
	s_cbranch_execz .LBB0_8
; %bb.7:
	v_mul_lo_u32 v3, s4, v33
	v_mov_b32_e32 v4, 0
	s_delay_alu instid0(VALU_DEP_2) | instskip(NEXT) | instid1(VALU_DEP_1)
	v_add3_u32 v3, s6, v1, v3
	v_lshlrev_b64_e32 v[3:4], 3, v[3:4]
	s_delay_alu instid0(VALU_DEP_1) | instskip(NEXT) | instid1(VALU_DEP_2)
	v_add_co_u32 v3, vcc_lo, s2, v3
	v_add_co_ci_u32_e32 v4, vcc_lo, s3, v4, vcc_lo
	global_load_b64 v[3:4], v[3:4], off
.LBB0_8:
	s_or_b32 exec_lo, exec_lo, s7
	v_add_nc_u32_e32 v31, 56, v33
	v_mov_b32_e32 v9, 0
	s_and_saveexec_b32 s7, s5
	s_cbranch_execz .LBB0_10
; %bb.9:
	s_delay_alu instid0(VALU_DEP_2) | instskip(SKIP_1) | instid1(VALU_DEP_2)
	v_mul_lo_u32 v5, s4, v31
	v_mov_b32_e32 v6, 0
	v_add3_u32 v5, s6, v1, v5
	s_delay_alu instid0(VALU_DEP_1) | instskip(NEXT) | instid1(VALU_DEP_1)
	v_lshlrev_b64_e32 v[5:6], 3, v[5:6]
	v_add_co_u32 v5, vcc_lo, s2, v5
	s_wait_alu 0xfffd
	s_delay_alu instid0(VALU_DEP_2)
	v_add_co_ci_u32_e32 v6, vcc_lo, s3, v6, vcc_lo
	global_load_b64 v[9:10], v[5:6], off
.LBB0_10:
	s_wait_alu 0xfffe
	s_or_b32 exec_lo, exec_lo, s7
	v_dual_mov_b32 v6, 0 :: v_dual_mov_b32 v13, 0
	v_mov_b32_e32 v14, 0
	s_and_saveexec_b32 s7, s5
	s_cbranch_execz .LBB0_12
; %bb.11:
	v_dual_mov_b32 v8, 0 :: v_dual_add_nc_u32 v5, 0x70, v33
	s_delay_alu instid0(VALU_DEP_1) | instskip(NEXT) | instid1(VALU_DEP_1)
	v_mul_lo_u32 v5, s4, v5
	v_add3_u32 v7, s6, v1, v5
	s_delay_alu instid0(VALU_DEP_1) | instskip(NEXT) | instid1(VALU_DEP_1)
	v_lshlrev_b64_e32 v[7:8], 3, v[7:8]
	v_add_co_u32 v7, vcc_lo, s2, v7
	s_wait_alu 0xfffd
	s_delay_alu instid0(VALU_DEP_2)
	v_add_co_ci_u32_e32 v8, vcc_lo, s3, v8, vcc_lo
	global_load_b64 v[13:14], v[7:8], off
.LBB0_12:
	s_wait_alu 0xfffe
	s_or_b32 exec_lo, exec_lo, s7
	v_dual_mov_b32 v5, 0 :: v_dual_add_nc_u32 v34, 14, v33
	s_and_saveexec_b32 s7, s5
	s_cbranch_execz .LBB0_14
; %bb.13:
	s_delay_alu instid0(VALU_DEP_1) | instskip(SKIP_1) | instid1(VALU_DEP_2)
	v_mul_lo_u32 v5, s4, v34
	v_mov_b32_e32 v6, 0
	v_add3_u32 v5, s6, v1, v5
	s_delay_alu instid0(VALU_DEP_1) | instskip(NEXT) | instid1(VALU_DEP_1)
	v_lshlrev_b64_e32 v[5:6], 3, v[5:6]
	v_add_co_u32 v5, vcc_lo, s2, v5
	s_wait_alu 0xfffd
	s_delay_alu instid0(VALU_DEP_2)
	v_add_co_ci_u32_e32 v6, vcc_lo, s3, v6, vcc_lo
	global_load_b64 v[5:6], v[5:6], off
.LBB0_14:
	s_wait_alu 0xfffe
	s_or_b32 exec_lo, exec_lo, s7
	v_dual_mov_b32 v17, 0 :: v_dual_add_nc_u32 v32, 0x46, v33
	v_mov_b32_e32 v16, 0
	v_mov_b32_e32 v18, 0
	s_and_saveexec_b32 s7, s5
	s_cbranch_execz .LBB0_16
; %bb.15:
	v_mul_lo_u32 v7, s4, v32
	v_mov_b32_e32 v8, 0
	s_delay_alu instid0(VALU_DEP_2) | instskip(NEXT) | instid1(VALU_DEP_1)
	v_add3_u32 v7, s6, v1, v7
	v_lshlrev_b64_e32 v[7:8], 3, v[7:8]
	s_delay_alu instid0(VALU_DEP_1) | instskip(SKIP_1) | instid1(VALU_DEP_2)
	v_add_co_u32 v7, vcc_lo, s2, v7
	s_wait_alu 0xfffd
	v_add_co_ci_u32_e32 v8, vcc_lo, s3, v8, vcc_lo
	global_load_b64 v[17:18], v[7:8], off
.LBB0_16:
	s_wait_alu 0xfffe
	s_or_b32 exec_lo, exec_lo, s7
	v_mov_b32_e32 v15, 0
	s_and_saveexec_b32 s7, s5
	s_cbranch_execz .LBB0_18
; %bb.17:
	v_dual_mov_b32 v8, 0 :: v_dual_add_nc_u32 v7, 0x7e, v33
	s_delay_alu instid0(VALU_DEP_1) | instskip(NEXT) | instid1(VALU_DEP_1)
	v_mul_lo_u32 v7, s4, v7
	v_add3_u32 v7, s6, v1, v7
	s_delay_alu instid0(VALU_DEP_1) | instskip(NEXT) | instid1(VALU_DEP_1)
	v_lshlrev_b64_e32 v[7:8], 3, v[7:8]
	v_add_co_u32 v7, vcc_lo, s2, v7
	s_wait_alu 0xfffd
	s_delay_alu instid0(VALU_DEP_2)
	v_add_co_ci_u32_e32 v8, vcc_lo, s3, v8, vcc_lo
	global_load_b64 v[15:16], v[7:8], off
.LBB0_18:
	s_wait_alu 0xfffe
	s_or_b32 exec_lo, exec_lo, s7
	v_dual_mov_b32 v20, 0 :: v_dual_add_nc_u32 v35, 28, v33
	v_dual_mov_b32 v8, 0 :: v_dual_mov_b32 v7, 0
	s_and_saveexec_b32 s7, s5
	s_cbranch_execz .LBB0_20
; %bb.19:
	s_delay_alu instid0(VALU_DEP_2) | instskip(SKIP_1) | instid1(VALU_DEP_2)
	v_mul_lo_u32 v7, s4, v35
	v_mov_b32_e32 v8, 0
	v_add3_u32 v7, s6, v1, v7
	s_delay_alu instid0(VALU_DEP_1) | instskip(NEXT) | instid1(VALU_DEP_1)
	v_lshlrev_b64_e32 v[7:8], 3, v[7:8]
	v_add_co_u32 v7, vcc_lo, s2, v7
	s_wait_alu 0xfffd
	s_delay_alu instid0(VALU_DEP_2)
	v_add_co_ci_u32_e32 v8, vcc_lo, s3, v8, vcc_lo
	global_load_b64 v[7:8], v[7:8], off
.LBB0_20:
	s_wait_alu 0xfffe
	s_or_b32 exec_lo, exec_lo, s7
	v_add_nc_u32_e32 v37, 0x54, v33
	v_mov_b32_e32 v19, 0
	s_and_saveexec_b32 s7, s5
	s_cbranch_execz .LBB0_22
; %bb.21:
	s_delay_alu instid0(VALU_DEP_2) | instskip(SKIP_1) | instid1(VALU_DEP_2)
	v_mul_lo_u32 v11, s4, v37
	v_mov_b32_e32 v12, 0
	v_add3_u32 v11, s6, v1, v11
	s_delay_alu instid0(VALU_DEP_1) | instskip(NEXT) | instid1(VALU_DEP_1)
	v_lshlrev_b64_e32 v[11:12], 3, v[11:12]
	v_add_co_u32 v11, vcc_lo, s2, v11
	s_wait_alu 0xfffd
	s_delay_alu instid0(VALU_DEP_2)
	v_add_co_ci_u32_e32 v12, vcc_lo, s3, v12, vcc_lo
	global_load_b64 v[19:20], v[11:12], off
.LBB0_22:
	s_wait_alu 0xfffe
	s_or_b32 exec_lo, exec_lo, s7
	v_dual_mov_b32 v12, 0 :: v_dual_mov_b32 v21, 0
	v_mov_b32_e32 v22, 0
	s_and_saveexec_b32 s7, s5
	s_cbranch_execz .LBB0_24
; %bb.23:
	v_dual_mov_b32 v22, 0 :: v_dual_add_nc_u32 v11, 0x8c, v33
	s_delay_alu instid0(VALU_DEP_1) | instskip(NEXT) | instid1(VALU_DEP_1)
	v_mul_lo_u32 v11, s4, v11
	v_add3_u32 v21, s6, v1, v11
	s_delay_alu instid0(VALU_DEP_1) | instskip(NEXT) | instid1(VALU_DEP_1)
	v_lshlrev_b64_e32 v[21:22], 3, v[21:22]
	v_add_co_u32 v21, vcc_lo, s2, v21
	s_wait_alu 0xfffd
	s_delay_alu instid0(VALU_DEP_2)
	v_add_co_ci_u32_e32 v22, vcc_lo, s3, v22, vcc_lo
	global_load_b64 v[21:22], v[21:22], off
.LBB0_24:
	s_wait_alu 0xfffe
	s_or_b32 exec_lo, exec_lo, s7
	v_dual_mov_b32 v11, 0 :: v_dual_add_nc_u32 v36, 42, v33
	s_and_saveexec_b32 s7, s5
	s_cbranch_execz .LBB0_26
; %bb.25:
	s_delay_alu instid0(VALU_DEP_1) | instskip(SKIP_1) | instid1(VALU_DEP_2)
	v_mul_lo_u32 v11, s4, v36
	v_mov_b32_e32 v12, 0
	v_add3_u32 v11, s6, v1, v11
	s_delay_alu instid0(VALU_DEP_1) | instskip(NEXT) | instid1(VALU_DEP_1)
	v_lshlrev_b64_e32 v[11:12], 3, v[11:12]
	v_add_co_u32 v11, vcc_lo, s2, v11
	s_wait_alu 0xfffd
	s_delay_alu instid0(VALU_DEP_2)
	v_add_co_ci_u32_e32 v12, vcc_lo, s3, v12, vcc_lo
	global_load_b64 v[11:12], v[11:12], off
.LBB0_26:
	s_wait_alu 0xfffe
	s_or_b32 exec_lo, exec_lo, s7
	s_load_b64 s[8:9], s[0:1], 0x0
	v_dual_mov_b32 v24, 0 :: v_dual_mov_b32 v25, 0
	v_mov_b32_e32 v26, 0
	s_and_saveexec_b32 s7, s5
	s_cbranch_execz .LBB0_28
; %bb.27:
	v_dual_mov_b32 v26, 0 :: v_dual_add_nc_u32 v23, 0x62, v33
	s_delay_alu instid0(VALU_DEP_1) | instskip(NEXT) | instid1(VALU_DEP_1)
	v_mul_lo_u32 v23, s4, v23
	v_add3_u32 v25, s6, v1, v23
	s_delay_alu instid0(VALU_DEP_1) | instskip(NEXT) | instid1(VALU_DEP_1)
	v_lshlrev_b64_e32 v[25:26], 3, v[25:26]
	v_add_co_u32 v25, vcc_lo, s2, v25
	s_wait_alu 0xfffd
	s_delay_alu instid0(VALU_DEP_2)
	v_add_co_ci_u32_e32 v26, vcc_lo, s3, v26, vcc_lo
	global_load_b64 v[25:26], v[25:26], off
.LBB0_28:
	s_wait_alu 0xfffe
	s_or_b32 exec_lo, exec_lo, s7
	v_mov_b32_e32 v23, 0
	s_and_saveexec_b32 s7, s5
	s_cbranch_execz .LBB0_30
; %bb.29:
	v_dual_mov_b32 v24, 0 :: v_dual_add_nc_u32 v23, 0x9a, v33
	s_delay_alu instid0(VALU_DEP_1) | instskip(NEXT) | instid1(VALU_DEP_1)
	v_mul_lo_u32 v23, s4, v23
	v_add3_u32 v23, s6, v1, v23
	s_delay_alu instid0(VALU_DEP_1) | instskip(NEXT) | instid1(VALU_DEP_1)
	v_lshlrev_b64_e32 v[23:24], 3, v[23:24]
	v_add_co_u32 v23, vcc_lo, s2, v23
	s_wait_alu 0xfffd
	s_delay_alu instid0(VALU_DEP_2)
	v_add_co_ci_u32_e32 v24, vcc_lo, s3, v24, vcc_lo
	global_load_b64 v[23:24], v[23:24], off
.LBB0_30:
	s_wait_alu 0xfffe
	s_or_b32 exec_lo, exec_lo, s7
	s_wait_loadcnt 0x0
	v_dual_add_f32 v29, v3, v9 :: v_dual_sub_f32 v30, v10, v14
	v_add_f32_e32 v28, v9, v13
	v_add_f32_e32 v38, v10, v14
	v_dual_add_f32 v10, v4, v10 :: v_dual_sub_f32 v9, v9, v13
	v_cmp_gt_u32_e32 vcc_lo, 0x8c, v0
	s_delay_alu instid0(VALU_DEP_4) | instskip(NEXT) | instid1(VALU_DEP_3)
	v_dual_fmac_f32 v3, -0.5, v28 :: v_dual_add_f32 v40, v17, v15
	v_dual_add_f32 v28, v29, v13 :: v_dual_add_f32 v29, v10, v14
	v_sub_f32_e32 v14, v18, v16
	s_delay_alu instid0(VALU_DEP_3)
	v_fmamk_f32 v39, v30, 0xbf5db3d7, v3
	v_fmac_f32_e32 v3, 0x3f5db3d7, v30
	v_fmac_f32_e32 v4, -0.5, v38
	v_dual_add_f32 v10, v5, v17 :: v_dual_fmac_f32 v5, -0.5, v40
	v_mul_u32_u24_e32 v30, 0x150, v33
	v_lshlrev_b32_e32 v38, 3, v27
	v_mul_lo_u16 v27, 0x56, v34
	s_delay_alu instid0(VALU_DEP_4)
	v_fmamk_f32 v13, v14, 0xbf5db3d7, v5
	v_fmamk_f32 v40, v9, 0x3f5db3d7, v4
	v_dual_fmac_f32 v4, 0xbf5db3d7, v9 :: v_dual_add_f32 v9, v10, v15
	v_dual_sub_f32 v15, v17, v15 :: v_dual_add_f32 v10, v18, v16
	v_fmac_f32_e32 v5, 0x3f5db3d7, v14
	v_add_f32_e32 v18, v6, v18
	s_delay_alu instid0(VALU_DEP_3) | instskip(NEXT) | instid1(VALU_DEP_2)
	v_fmac_f32_e32 v6, -0.5, v10
	v_add_f32_e32 v10, v18, v16
	v_sub_f32_e32 v18, v20, v22
	v_add_f32_e32 v14, v19, v21
	v_add_f32_e32 v16, v7, v19
	v_sub_f32_e32 v19, v19, v21
	s_delay_alu instid0(VALU_DEP_3) | instskip(NEXT) | instid1(VALU_DEP_3)
	v_dual_fmac_f32 v7, -0.5, v14 :: v_dual_fmamk_f32 v14, v15, 0x3f5db3d7, v6
	v_dual_fmac_f32 v6, 0xbf5db3d7, v15 :: v_dual_add_f32 v15, v16, v21
	v_dual_add_f32 v16, v20, v22 :: v_dual_sub_f32 v21, v26, v24
	s_delay_alu instid0(VALU_DEP_3) | instskip(SKIP_1) | instid1(VALU_DEP_3)
	v_dual_fmamk_f32 v17, v18, 0xbf5db3d7, v7 :: v_dual_add_f32 v20, v8, v20
	v_dual_fmac_f32 v7, 0x3f5db3d7, v18 :: v_dual_add_f32 v18, v25, v23
	v_fmac_f32_e32 v8, -0.5, v16
	s_delay_alu instid0(VALU_DEP_3) | instskip(NEXT) | instid1(VALU_DEP_3)
	v_add_f32_e32 v16, v20, v22
	v_dual_add_f32 v20, v11, v25 :: v_dual_fmac_f32 v11, -0.5, v18
	s_delay_alu instid0(VALU_DEP_3) | instskip(SKIP_1) | instid1(VALU_DEP_3)
	v_fmamk_f32 v18, v19, 0x3f5db3d7, v8
	v_fmac_f32_e32 v8, 0xbf5db3d7, v19
	v_dual_add_f32 v19, v20, v23 :: v_dual_fmamk_f32 v22, v21, 0xbf5db3d7, v11
	v_fmac_f32_e32 v11, 0x3f5db3d7, v21
	v_add3_u32 v21, 0, v30, v38
	v_add_f32_e32 v20, v26, v24
	v_dual_add_f32 v26, v12, v26 :: v_dual_sub_f32 v23, v25, v23
	s_delay_alu instid0(VALU_DEP_2) | instskip(NEXT) | instid1(VALU_DEP_2)
	v_fmac_f32_e32 v12, -0.5, v20
	v_add_f32_e32 v20, v26, v24
	v_mul_lo_u16 v24, 0x56, v33
	v_add_nc_u32_e32 v26, 0x2000, v21
	s_delay_alu instid0(VALU_DEP_4) | instskip(SKIP_1) | instid1(VALU_DEP_4)
	v_fmamk_f32 v25, v23, 0x3f5db3d7, v12
	v_fmac_f32_e32 v12, 0xbf5db3d7, v23
	v_lshrrev_b16 v24, 8, v24
	v_add_nc_u32_e32 v23, 0x1000, v21
	ds_store_2addr_b64 v21, v[28:29], v[39:40] offset1:14
	ds_store_2addr_b64 v23, v[9:10], v[13:14] offset0:76 offset1:90
	ds_store_2addr_b64 v26, v[15:16], v[17:18] offset0:152 offset1:166
	v_mul_lo_u16 v9, v24, 3
	v_lshrrev_b16 v13, 8, v27
	v_mul_lo_u16 v10, 0x56, v35
	ds_store_b64 v21, v[3:4] offset:224
	ds_store_b64 v21, v[5:6] offset:4928
	;; [unrolled: 1-line block ×4, first 2 shown]
	v_add_nc_u32_e32 v5, 0x3400, v21
	v_sub_nc_u16 v3, v33, v9
	v_mul_lo_u16 v4, v13, 3
	v_lshrrev_b16 v18, 8, v10
	v_add_nc_u32_e32 v6, 0x3800, v21
	ds_store_2addr_b32 v5, v22, v25 offset0:228 offset1:229
	ds_store_2addr_b32 v6, v11, v12 offset1:1
	v_and_b32_e32 v30, 0xff, v3
	v_sub_nc_u16 v3, v34, v4
	v_mul_lo_u16 v4, v18, 3
	global_wb scope:SCOPE_SE
	s_wait_dscnt 0x0
	s_wait_kmcnt 0x0
	s_barrier_signal -1
	v_mul_u32_u24_e32 v5, 3, v30
	v_and_b32_e32 v56, 0xff, v3
	v_sub_nc_u16 v3, v35, v4
	s_barrier_wait -1
	global_inv scope:SCOPE_SE
	v_lshlrev_b32_e32 v7, 3, v5
	v_mul_u32_u24_e32 v8, 3, v56
	v_and_b32_e32 v57, 0xff, v3
	v_mad_i32_i24 v39, 0xffffff20, v33, v21
	global_load_b128 v[3:6], v7, s[8:9]
	v_lshlrev_b32_e32 v14, 3, v8
	v_mul_u32_u24_e32 v15, 3, v57
	s_clause 0x1
	global_load_b64 v[11:12], v7, s[8:9] offset:16
	global_load_b128 v[7:10], v14, s[8:9]
	v_lshlrev_b32_e32 v19, 3, v15
	s_clause 0x2
	global_load_b64 v[46:47], v14, s[8:9] offset:16
	global_load_b128 v[14:17], v19, s[8:9]
	global_load_b64 v[48:49], v19, s[8:9] offset:16
	v_add_nc_u32_e32 v19, 0x3720, v21
	v_and_b32_e32 v20, 0xffff, v24
	v_and_b32_e32 v21, 0xffff, v13
	;; [unrolled: 1-line block ×3, first 2 shown]
	v_add_nc_u32_e32 v22, 0x3000, v39
	v_mad_i32_i24 v40, 0xffffff20, v36, v19
	ds_load_b64 v[50:51], v39
	ds_load_b64 v[52:53], v40
	v_add_nc_u32_e32 v19, 0x2400, v39
	v_add_nc_u32_e32 v13, 0x1800, v39
	v_add_nc_u32_e32 v42, 0x3c00, v39
	v_add_nc_u32_e32 v41, 0xfffff3c0, v40
	v_mul_u32_u24_e32 v58, 12, v20
	v_mul_u32_u24_e32 v59, 12, v21
	;; [unrolled: 1-line block ×3, first 2 shown]
	s_wait_loadcnt_dscnt 0x500
	v_mul_f32_e32 v64, v4, v53
	ds_load_2addr_b64 v[18:21], v19 offset0:24 offset1:220
	ds_load_2addr_b64 v[22:25], v22 offset0:32 offset1:228
	;; [unrolled: 1-line block ×4, first 2 shown]
	ds_load_b32 v61, v41
	ds_load_b64 v[54:55], v41
	ds_load_b32 v62, v41 offset:4
	ds_load_b32 v63, v41 offset:1568
	v_mul_f32_e32 v4, v4, v52
	v_fmac_f32_e32 v64, v3, v52
	s_delay_alu instid0(VALU_DEP_2)
	v_fma_f32 v3, v3, v53, -v4
	s_wait_dscnt 0x7
	v_mul_f32_e32 v65, v6, v19
	s_wait_loadcnt_dscnt 0x305
	v_dual_mul_f32 v6, v6, v18 :: v_dual_mul_f32 v67, v8, v27
	s_wait_loadcnt_dscnt 0x204
	v_mul_f32_e32 v69, v43, v47
	v_mul_f32_e32 v47, v42, v47
	v_fmac_f32_e32 v65, v5, v18
	v_fma_f32 v4, v5, v19, -v6
	v_or_b32_e32 v30, v58, v30
	v_fmac_f32_e32 v67, v7, v26
	v_or_b32_e32 v58, v59, v56
	v_or_b32_e32 v59, v60, v57
	ds_load_b32 v60, v41 offset:1572
	ds_load_b64 v[56:57], v41 offset:1568
	v_dual_sub_f32 v19, v51, v4 :: v_dual_mul_f32 v8, v8, v26
	s_wait_loadcnt 0x1
	v_mul_f32_e32 v71, v23, v17
	v_mul_f32_e32 v17, v22, v17
	v_fmac_f32_e32 v69, v42, v46
	v_mul_u32_u24_e32 v30, 0x70, v30
	v_fma_f32 v6, v7, v27, -v8
	v_fma_f32 v8, v43, v46, -v47
	v_fma_f32 v27, v51, 2.0, -v19
	v_mul_f32_e32 v70, v29, v15
	v_mul_f32_e32 v15, v28, v15
	v_fmac_f32_e32 v71, v22, v16
	v_sub_f32_e32 v8, v6, v8
	v_mul_f32_e32 v68, v21, v10
	v_mul_f32_e32 v10, v20, v10
	v_mul_u32_u24_e32 v58, 0x70, v58
	v_mul_u32_u24_e32 v59, 0x70, v59
	v_add3_u32 v30, 0, v30, v38
	v_fmac_f32_e32 v68, v20, v9
	v_fma_f32 v7, v21, v9, -v10
	v_fma_f32 v9, v29, v14, -v15
	;; [unrolled: 1-line block ×3, first 2 shown]
	v_mul_f32_e32 v66, v12, v25
	s_wait_dscnt 0x4
	v_dual_mul_f32 v12, v12, v24 :: v_dual_sub_f32 v7, v55, v7
	v_sub_f32_e32 v16, v67, v69
	v_sub_f32_e32 v22, v54, v68
	v_fma_f32 v21, v6, 2.0, -v8
	s_delay_alu instid0(VALU_DEP_4)
	v_fma_f32 v5, v11, v25, -v12
	s_wait_dscnt 0x0
	v_dual_sub_f32 v25, v57, v10 :: v_dual_fmac_f32 v66, v11, v24
	v_sub_f32_e32 v24, v56, v71
	s_wait_loadcnt 0x0
	v_mul_f32_e32 v72, v45, v49
	v_mul_f32_e32 v49, v44, v49
	v_sub_f32_e32 v12, v50, v65
	v_dual_sub_f32 v4, v64, v66 :: v_dual_sub_f32 v5, v3, v5
	v_fma_f32 v20, v67, 2.0, -v16
	s_delay_alu instid0(VALU_DEP_4) | instskip(NEXT) | instid1(VALU_DEP_4)
	v_fma_f32 v11, v45, v48, -v49
	v_fma_f32 v26, v50, 2.0, -v12
	s_delay_alu instid0(VALU_DEP_4) | instskip(SKIP_3) | instid1(VALU_DEP_3)
	v_fma_f32 v17, v64, 2.0, -v4
	v_fma_f32 v18, v3, 2.0, -v5
	v_sub_f32_e32 v15, v19, v4
	v_dual_sub_f32 v11, v9, v11 :: v_dual_sub_f32 v4, v7, v16
	v_dual_sub_f32 v16, v26, v17 :: v_dual_sub_f32 v17, v27, v18
	v_fmac_f32_e32 v70, v28, v14
	v_add_f32_e32 v14, v12, v5
	s_delay_alu instid0(VALU_DEP_4)
	v_add_f32_e32 v5, v24, v11
	v_fmac_f32_e32 v72, v44, v48
	v_fma_f32 v28, v61, 2.0, -v22
	v_fma_f32 v29, v62, 2.0, -v7
	v_add_f32_e32 v3, v22, v8
	v_fma_f32 v42, v63, 2.0, -v24
	v_sub_f32_e32 v10, v70, v72
	v_fma_f32 v43, v60, 2.0, -v25
	v_fma_f32 v44, v9, 2.0, -v11
	v_dual_sub_f32 v20, v28, v20 :: v_dual_sub_f32 v21, v29, v21
	s_delay_alu instid0(VALU_DEP_4) | instskip(SKIP_1) | instid1(VALU_DEP_4)
	v_fma_f32 v8, v70, 2.0, -v10
	v_sub_f32_e32 v6, v25, v10
	v_sub_f32_e32 v10, v43, v44
	v_fma_f32 v18, v12, 2.0, -v14
	v_fma_f32 v19, v19, 2.0, -v15
	v_sub_f32_e32 v9, v42, v8
	v_fma_f32 v23, v7, 2.0, -v4
	v_fma_f32 v7, v24, 2.0, -v5
	;; [unrolled: 1-line block ×5, first 2 shown]
	v_add3_u32 v58, 0, v58, v38
	v_fma_f32 v22, v22, 2.0, -v3
	v_fma_f32 v26, v28, 2.0, -v20
	;; [unrolled: 1-line block ×3, first 2 shown]
	v_add3_u32 v59, 0, v59, v38
	v_fma_f32 v11, v42, 2.0, -v9
	v_fma_f32 v12, v43, 2.0, -v10
	global_wb scope:SCOPE_SE
	s_barrier_signal -1
	s_barrier_wait -1
	global_inv scope:SCOPE_SE
	ds_store_2addr_b64 v30, v[16:17], v[14:15] offset0:84 offset1:126
	ds_store_2addr_b64 v30, v[24:25], v[18:19] offset1:42
	ds_store_2addr_b64 v58, v[26:27], v[22:23] offset1:42
	ds_store_2addr_b64 v58, v[20:21], v[3:4] offset0:84 offset1:126
	ds_store_2addr_b64 v59, v[11:12], v[7:8] offset1:42
	ds_store_2addr_b64 v59, v[9:10], v[5:6] offset0:84 offset1:126
	global_wb scope:SCOPE_SE
	s_wait_dscnt 0x0
	s_barrier_signal -1
	s_barrier_wait -1
	global_inv scope:SCOPE_SE
	ds_load_b64 v[17:18], v39
	ds_load_b64 v[29:30], v39 offset:2688
	ds_load_b64 v[27:28], v39 offset:5376
	;; [unrolled: 1-line block ×6, first 2 shown]
                                        ; implicit-def: $vgpr16
                                        ; implicit-def: $vgpr14
	s_and_saveexec_b32 s7, vcc_lo
	s_cbranch_execz .LBB0_32
; %bb.31:
	ds_load_2addr_b32 v[3:4], v41 offset1:1
	ds_load_2addr_b32 v[7:8], v13 offset0:200 offset1:201
	ds_load_b64 v[11:12], v39 offset:4256
	ds_load_b64 v[9:10], v39 offset:9632
	;; [unrolled: 1-line block ×5, first 2 shown]
.LBB0_32:
	s_wait_alu 0xfffe
	s_or_b32 exec_lo, exec_lo, s7
	v_mul_lo_u16 v42, v33, 22
	s_delay_alu instid0(VALU_DEP_1) | instskip(NEXT) | instid1(VALU_DEP_1)
	v_lshrrev_b16 v54, 8, v42
	v_mul_lo_u16 v42, v54, 12
	s_delay_alu instid0(VALU_DEP_1) | instskip(NEXT) | instid1(VALU_DEP_1)
	v_sub_nc_u16 v42, v33, v42
	v_and_b32_e32 v55, 0xff, v42
	s_delay_alu instid0(VALU_DEP_1) | instskip(NEXT) | instid1(VALU_DEP_1)
	v_mul_u32_u24_e32 v42, 6, v55
	v_lshlrev_b32_e32 v50, 3, v42
	s_clause 0x2
	global_load_b128 v[42:45], v50, s[8:9] offset:72
	global_load_b128 v[46:49], v50, s[8:9] offset:88
	global_load_b128 v[50:53], v50, s[8:9] offset:104
	v_and_b32_e32 v54, 0xffff, v54
	global_wb scope:SCOPE_SE
	s_wait_loadcnt_dscnt 0x0
	s_barrier_signal -1
	s_barrier_wait -1
	global_inv scope:SCOPE_SE
	v_mul_f32_e32 v58, v45, v28
	v_mul_f32_e32 v45, v45, v27
	v_mad_u32_u24 v54, 0x54, v54, v55
	v_dual_mul_f32 v61, v51, v20 :: v_dual_mul_f32 v62, v53, v26
	v_mul_f32_e32 v51, v51, v19
	v_mul_f32_e32 v59, v47, v24
	s_delay_alu instid0(VALU_DEP_4) | instskip(SKIP_3) | instid1(VALU_DEP_4)
	v_mul_u32_u24_e32 v54, 0x70, v54
	v_dual_mul_f32 v47, v47, v23 :: v_dual_mul_f32 v60, v49, v22
	v_mul_f32_e32 v57, v43, v30
	v_mul_f32_e32 v43, v43, v29
	v_add3_u32 v54, 0, v54, v38
	v_fmac_f32_e32 v58, v44, v27
	v_fmac_f32_e32 v60, v48, v21
	v_fma_f32 v27, v44, v28, -v45
	v_fmac_f32_e32 v62, v52, v25
	v_add_nc_u32_e32 v56, 0x1400, v54
	v_add_nc_u32_e32 v55, 0x800, v54
	v_fmac_f32_e32 v59, v46, v23
	v_fmac_f32_e32 v57, v42, v29
	v_fma_f32 v29, v42, v30, -v43
	v_fmac_f32_e32 v61, v50, v19
	v_fma_f32 v19, v50, v20, -v51
	v_mul_f32_e32 v49, v49, v21
	v_fma_f32 v23, v46, v24, -v47
	v_sub_f32_e32 v42, v60, v59
	v_add_f32_e32 v20, v57, v62
	v_add_f32_e32 v28, v27, v19
	v_fma_f32 v22, v48, v22, -v49
	s_delay_alu instid0(VALU_DEP_1) | instskip(NEXT) | instid1(VALU_DEP_1)
	v_dual_mul_f32 v53, v53, v25 :: v_dual_add_f32 v30, v23, v22
	v_fma_f32 v21, v52, v26, -v53
	v_sub_f32_e32 v22, v22, v23
	s_delay_alu instid0(VALU_DEP_2)
	v_add_f32_e32 v24, v29, v21
	v_dual_sub_f32 v25, v57, v62 :: v_dual_add_f32 v26, v58, v61
	v_sub_f32_e32 v19, v27, v19
	v_add_f32_e32 v27, v59, v60
	v_sub_f32_e32 v21, v29, v21
	v_add_f32_e32 v43, v28, v24
	v_sub_f32_e32 v44, v26, v20
	v_sub_f32_e32 v45, v28, v24
	v_dual_sub_f32 v24, v24, v30 :: v_dual_sub_f32 v29, v58, v61
	v_dual_add_f32 v23, v26, v20 :: v_dual_sub_f32 v26, v27, v26
	v_sub_f32_e32 v20, v20, v27
	v_add_f32_e32 v47, v22, v19
	s_delay_alu instid0(VALU_DEP_4)
	v_add_f32_e32 v46, v42, v29
	v_sub_f32_e32 v48, v42, v29
	v_dual_sub_f32 v42, v25, v42 :: v_dual_sub_f32 v49, v22, v19
	v_dual_sub_f32 v22, v21, v22 :: v_dual_sub_f32 v19, v19, v21
	v_dual_mul_f32 v20, 0x3f4a47b2, v20 :: v_dual_add_f32 v23, v27, v23
	v_mul_f32_e32 v24, 0x3f4a47b2, v24
	v_dual_sub_f32 v28, v30, v28 :: v_dual_sub_f32 v29, v29, v25
	v_dual_add_f32 v27, v30, v43 :: v_dual_mul_f32 v30, 0x3d64c772, v26
	v_dual_add_f32 v25, v46, v25 :: v_dual_mul_f32 v46, 0x3f08b237, v48
	v_dual_add_f32 v21, v47, v21 :: v_dual_fmamk_f32 v26, v26, 0x3d64c772, v20
	v_mul_f32_e32 v47, 0x3f08b237, v49
	v_add_f32_e32 v17, v23, v17
	v_dual_mul_f32 v43, 0x3d64c772, v28 :: v_dual_add_f32 v18, v27, v18
	v_dual_mul_f32 v48, 0xbf5ff5aa, v29 :: v_dual_mul_f32 v49, 0xbf5ff5aa, v19
	v_fmamk_f32 v28, v28, 0x3d64c772, v24
	v_fma_f32 v30, 0x3f3bfb3b, v44, -v30
	v_fma_f32 v20, 0xbf3bfb3b, v44, -v20
	v_fmamk_f32 v44, v42, 0xbeae86e6, v46
	v_fma_f32 v29, 0xbf5ff5aa, v29, -v46
	v_fma_f32 v46, 0xbf5ff5aa, v19, -v47
	;; [unrolled: 3-line block ×3, first 2 shown]
	v_fma_f32 v42, 0x3eae86e6, v42, -v48
	s_delay_alu instid0(VALU_DEP_4) | instskip(SKIP_3) | instid1(VALU_DEP_2)
	v_add_f32_e32 v48, v26, v19
	v_fmamk_f32 v45, v22, 0xbeae86e6, v47
	v_fma_f32 v47, 0x3eae86e6, v22, -v49
	v_dual_fmamk_f32 v22, v27, 0xbf955555, v18 :: v_dual_add_f32 v27, v20, v19
	v_fmac_f32_e32 v47, 0xbee1c552, v21
	s_delay_alu instid0(VALU_DEP_2) | instskip(SKIP_1) | instid1(VALU_DEP_2)
	v_dual_add_f32 v49, v28, v22 :: v_dual_fmac_f32 v44, 0xbee1c552, v25
	v_fmac_f32_e32 v42, 0xbee1c552, v25
	v_dual_fmac_f32 v29, 0xbee1c552, v25 :: v_dual_sub_f32 v20, v49, v44
	v_dual_add_f32 v25, v30, v19 :: v_dual_add_f32 v28, v24, v22
	v_dual_fmac_f32 v45, 0xbee1c552, v21 :: v_dual_add_f32 v26, v43, v22
	v_dual_fmac_f32 v46, 0xbee1c552, v21 :: v_dual_add_f32 v21, v47, v27
	s_delay_alu instid0(VALU_DEP_2) | instskip(NEXT) | instid1(VALU_DEP_3)
	v_dual_sub_f32 v22, v28, v42 :: v_dual_add_f32 v19, v45, v48
	v_add_f32_e32 v24, v29, v26
	s_delay_alu instid0(VALU_DEP_3)
	v_dual_sub_f32 v23, v25, v46 :: v_dual_sub_f32 v26, v26, v29
	v_add_f32_e32 v25, v46, v25
	v_dual_sub_f32 v27, v27, v47 :: v_dual_add_f32 v28, v42, v28
	v_sub_f32_e32 v29, v48, v45
	v_add_f32_e32 v30, v44, v49
	ds_store_2addr_b64 v54, v[17:18], v[19:20] offset1:168
	ds_store_2addr_b64 v55, v[21:22], v[23:24] offset0:80 offset1:248
	ds_store_2addr_b64 v56, v[25:26], v[27:28] offset0:32 offset1:200
	ds_store_b64 v54, v[29:30] offset:8064
	s_and_saveexec_b32 s7, vcc_lo
	s_cbranch_execz .LBB0_34
; %bb.33:
	v_mul_lo_u16 v17, v34, 43
	s_delay_alu instid0(VALU_DEP_1) | instskip(NEXT) | instid1(VALU_DEP_1)
	v_lshrrev_b16 v17, 9, v17
	v_mul_lo_u16 v17, v17, 12
	s_delay_alu instid0(VALU_DEP_1) | instskip(NEXT) | instid1(VALU_DEP_1)
	v_sub_nc_u16 v17, v34, v17
	v_and_b32_e32 v29, 0xff, v17
	s_delay_alu instid0(VALU_DEP_1) | instskip(NEXT) | instid1(VALU_DEP_1)
	v_mul_u32_u24_e32 v17, 6, v29
	v_lshlrev_b32_e32 v25, 3, v17
	s_clause 0x2
	global_load_b128 v[17:20], v25, s[8:9] offset:72
	global_load_b128 v[21:24], v25, s[8:9] offset:104
	;; [unrolled: 1-line block ×3, first 2 shown]
	s_wait_loadcnt 0x2
	v_mul_f32_e32 v44, v12, v18
	v_mul_u32_u24_e32 v29, 0x70, v29
	s_wait_loadcnt 0x0
	v_mul_f32_e32 v46, v6, v28
	v_mul_f32_e32 v49, v14, v22
	;; [unrolled: 1-line block ×4, first 2 shown]
	v_add3_u32 v29, 0, v29, v38
	v_mul_f32_e32 v47, v10, v26
	s_delay_alu instid0(VALU_DEP_4) | instskip(SKIP_1) | instid1(VALU_DEP_4)
	v_dual_mul_f32 v26, v9, v26 :: v_dual_fmac_f32 v45, v15, v23
	v_mul_f32_e32 v48, v8, v20
	v_add_nc_u32_e32 v30, 0x2400, v29
	v_add_nc_u32_e32 v42, 0x2e00, v29
	v_dual_mul_f32 v18, v11, v18 :: v_dual_add_nc_u32 v43, 0x3800, v29
	v_dual_fmac_f32 v47, v9, v25 :: v_dual_mul_f32 v20, v7, v20
	v_fmac_f32_e32 v49, v13, v21
	v_fma_f32 v9, v10, v25, -v26
	v_fmac_f32_e32 v44, v11, v17
	v_mul_f32_e32 v28, v5, v28
	v_fma_f32 v8, v8, v19, -v20
	v_fmac_f32_e32 v48, v7, v19
	s_delay_alu instid0(VALU_DEP_4) | instskip(NEXT) | instid1(VALU_DEP_4)
	v_dual_mul_f32 v22, v13, v22 :: v_dual_sub_f32 v11, v44, v45
	v_fma_f32 v6, v6, v27, -v28
	v_fma_f32 v7, v12, v17, -v18
	s_delay_alu instid0(VALU_DEP_4) | instskip(NEXT) | instid1(VALU_DEP_4)
	v_sub_f32_e32 v13, v48, v49
	v_fma_f32 v10, v14, v21, -v22
	s_delay_alu instid0(VALU_DEP_4) | instskip(SKIP_2) | instid1(VALU_DEP_4)
	v_add_f32_e32 v15, v9, v6
	v_dual_fmac_f32 v46, v5, v27 :: v_dual_add_f32 v17, v44, v45
	v_fma_f32 v5, v16, v23, -v24
	v_add_f32_e32 v16, v8, v10
	s_delay_alu instid0(VALU_DEP_3) | instskip(NEXT) | instid1(VALU_DEP_3)
	v_add_f32_e32 v18, v47, v46
	v_add_f32_e32 v14, v7, v5
	v_sub_f32_e32 v5, v7, v5
	v_dual_sub_f32 v6, v6, v9 :: v_dual_sub_f32 v7, v8, v10
	v_dual_sub_f32 v12, v46, v47 :: v_dual_add_f32 v19, v48, v49
	s_delay_alu instid0(VALU_DEP_1) | instskip(SKIP_1) | instid1(VALU_DEP_3)
	v_sub_f32_e32 v9, v12, v13
	v_dual_add_f32 v10, v12, v13 :: v_dual_sub_f32 v13, v13, v11
	v_dual_sub_f32 v20, v15, v16 :: v_dual_sub_f32 v23, v18, v19
	s_delay_alu instid0(VALU_DEP_3) | instskip(SKIP_2) | instid1(VALU_DEP_2)
	v_mul_f32_e32 v9, 0x3f08b237, v9
	v_dual_add_f32 v21, v16, v14 :: v_dual_sub_f32 v8, v11, v12
	v_dual_sub_f32 v25, v5, v6 :: v_dual_sub_f32 v12, v14, v15
	v_dual_sub_f32 v26, v6, v7 :: v_dual_add_f32 v15, v15, v21
	v_dual_add_f32 v6, v6, v7 :: v_dual_sub_f32 v7, v7, v5
	v_sub_f32_e32 v22, v17, v18
	v_sub_f32_e32 v14, v16, v14
	;; [unrolled: 1-line block ×3, first 2 shown]
	v_dual_add_f32 v10, v10, v11 :: v_dual_mul_f32 v11, 0x3f4a47b2, v12
	s_delay_alu instid0(VALU_DEP_4)
	v_dual_add_f32 v24, v19, v17 :: v_dual_mul_f32 v17, 0x3f4a47b2, v22
	v_mul_f32_e32 v21, 0x3f08b237, v26
	v_dual_mul_f32 v12, 0x3d64c772, v20 :: v_dual_add_f32 v5, v6, v5
	v_mul_f32_e32 v6, 0xbf5ff5aa, v13
	v_mul_f32_e32 v19, 0x3d64c772, v23
	v_dual_add_f32 v4, v4, v15 :: v_dual_fmamk_f32 v23, v23, 0x3d64c772, v17
	v_fmamk_f32 v20, v20, 0x3d64c772, v11
	s_delay_alu instid0(VALU_DEP_4)
	v_fma_f32 v27, 0x3eae86e6, v8, -v6
	v_add_f32_e32 v18, v18, v24
	v_fma_f32 v6, 0xbf3bfb3b, v14, -v11
	v_fma_f32 v11, 0x3f3bfb3b, v14, -v12
	v_fmamk_f32 v12, v15, 0xbf955555, v4
	v_mul_f32_e32 v22, 0xbf5ff5aa, v7
	v_fmac_f32_e32 v27, 0xbee1c552, v10
	v_dual_add_f32 v3, v3, v18 :: v_dual_fmamk_f32 v24, v8, 0xbeae86e6, v9
	s_delay_alu instid0(VALU_DEP_4) | instskip(SKIP_2) | instid1(VALU_DEP_4)
	v_add_f32_e32 v11, v11, v12
	v_fma_f32 v9, 0xbf5ff5aa, v13, -v9
	v_add_f32_e32 v14, v6, v12
	v_fmamk_f32 v13, v18, 0xbf955555, v3
	v_fma_f32 v8, 0xbf3bfb3b, v16, -v17
	v_fmamk_f32 v26, v25, 0xbeae86e6, v21
	v_fma_f32 v17, 0x3eae86e6, v25, -v22
	v_fma_f32 v21, 0xbf5ff5aa, v7, -v21
	;; [unrolled: 1-line block ×3, first 2 shown]
	v_dual_add_f32 v19, v8, v13 :: v_dual_fmac_f32 v24, 0xbee1c552, v10
	v_dual_fmac_f32 v26, 0xbee1c552, v5 :: v_dual_fmac_f32 v9, 0xbee1c552, v10
	v_fmac_f32_e32 v17, 0xbee1c552, v5
	v_fmac_f32_e32 v21, 0xbee1c552, v5
	v_dual_add_f32 v5, v20, v12 :: v_dual_add_f32 v18, v23, v13
	s_delay_alu instid0(VALU_DEP_3) | instskip(SKIP_1) | instid1(VALU_DEP_3)
	v_dual_add_f32 v20, v7, v13 :: v_dual_add_f32 v13, v17, v19
	v_add_f32_e32 v8, v27, v14
	v_dual_sub_f32 v16, v5, v24 :: v_dual_add_f32 v15, v26, v18
	v_sub_f32_e32 v10, v11, v9
	s_delay_alu instid0(VALU_DEP_4)
	v_dual_add_f32 v12, v9, v11 :: v_dual_sub_f32 v11, v20, v21
	v_sub_f32_e32 v14, v14, v27
	v_dual_add_f32 v6, v24, v5 :: v_dual_add_f32 v9, v21, v20
	v_sub_f32_e32 v7, v19, v17
	v_sub_f32_e32 v5, v18, v26
	ds_store_2addr_b64 v30, v[3:4], v[15:16] offset0:24 offset1:192
	ds_store_2addr_b64 v42, v[13:14], v[11:12] offset0:40 offset1:208
	;; [unrolled: 1-line block ×3, first 2 shown]
	ds_store_b64 v29, v[5:6] offset:17472
.LBB0_34:
	s_wait_alu 0xfffe
	s_or_b32 exec_lo, exec_lo, s7
	global_wb scope:SCOPE_SE
	s_wait_dscnt 0x0
	s_barrier_signal -1
	s_barrier_wait -1
	global_inv scope:SCOPE_SE
	s_and_saveexec_b32 s7, s5
	s_cbranch_execz .LBB0_36
; %bb.35:
	v_dual_mov_b32 v4, 0 :: v_dual_add_nc_u32 v3, -14, v33
	v_cmp_gt_u32_e32 vcc_lo, 0xc4, v0
	v_subrev_nc_u32_e32 v5, 28, v33
	v_subrev_nc_u32_e32 v7, 42, v33
	s_load_b64 s[0:1], s[0:1], 0x8
	v_dual_mov_b32 v6, v4 :: v_dual_cndmask_b32 v3, v3, v32
	v_cmp_gt_u32_e32 vcc_lo, 0x188, v0
	v_mul_lo_u32 v92, v2, v33
	v_mov_b32_e32 v26, v4
	s_delay_alu instid0(VALU_DEP_4)
	v_lshlrev_b64_e32 v[8:9], 3, v[3:4]
	s_wait_alu 0xfffd
	v_cndmask_b32_e32 v5, v5, v31, vcc_lo
	v_cmp_gt_u32_e32 vcc_lo, 0x24c, v0
	v_mul_lo_u32 v30, v2, v3
	s_wait_alu 0xfffd
	v_cndmask_b32_e32 v7, v7, v36, vcc_lo
	v_add_co_u32 v12, vcc_lo, s8, v8
	v_mov_b32_e32 v8, v4
	v_lshlrev_b64_e32 v[10:11], 3, v[5:6]
	s_wait_alu 0xfffd
	v_add_co_ci_u32_e32 v13, vcc_lo, s9, v9, vcc_lo
	v_subrev_nc_u32_e32 v6, 56, v33
	s_delay_alu instid0(VALU_DEP_3)
	v_add_co_u32 v9, vcc_lo, s8, v10
	s_wait_alu 0xfffd
	v_add_co_ci_u32_e32 v10, vcc_lo, s9, v11, vcc_lo
	v_cmp_gt_u32_e32 vcc_lo, 0x310, v0
	s_clause 0x1
	global_load_b64 v[17:18], v[12:13], off offset:648
	global_load_b64 v[19:20], v[9:10], off offset:648
	v_lshlrev_b64_e32 v[11:12], 3, v[7:8]
	s_wait_alu 0xfffd
	v_dual_cndmask_b32 v8, v6, v35 :: v_dual_mov_b32 v9, v4
	v_add_nc_u32_e32 v6, 0xffffffba, v33
	v_mul_lo_u32 v78, v2, v7
	s_delay_alu instid0(VALU_DEP_4)
	v_add_co_u32 v10, vcc_lo, s8, v11
	s_wait_alu 0xfffd
	v_add_co_ci_u32_e32 v11, vcc_lo, s9, v12, vcc_lo
	v_lshlrev_b64_e32 v[12:13], 3, v[8:9]
	v_mul_lo_u32 v79, v2, v8
	global_load_b64 v[21:22], v[10:11], off offset:648
	v_add_co_u32 v9, vcc_lo, s8, v12
	s_wait_alu 0xfffd
	v_add_co_ci_u32_e32 v10, vcc_lo, s9, v13, vcc_lo
	v_cmp_gt_u32_e32 vcc_lo, 0x3d4, v0
	v_lshlrev_b32_e32 v0, 3, v33
	v_lshrrev_b32_e32 v12, 5, v79
	global_load_b64 v[23:24], v[9:10], off offset:648
	s_wait_alu 0xfffd
	v_cndmask_b32_e32 v25, v6, v34, vcc_lo
	v_mul_lo_u32 v6, v2, v37
	s_delay_alu instid0(VALU_DEP_2)
	v_lshlrev_b64_e32 v[9:10], 3, v[25:26]
	global_load_b64 v[26:27], v0, s[8:9] offset:648
	v_mul_lo_u32 v80, v2, v25
	v_and_b32_e32 v0, 0xff, v6
	v_lshrrev_b32_e32 v11, 5, v6
	v_add_co_u32 v9, vcc_lo, s8, v9
	s_wait_alu 0xfffd
	v_add_co_ci_u32_e32 v10, vcc_lo, s9, v10, vcc_lo
	v_lshlrev_b32_e32 v0, 3, v0
	v_lshrrev_b32_e32 v6, 13, v6
	global_load_b64 v[28:29], v[9:10], off offset:648
	v_and_b32_e32 v9, 0x7f8, v11
	s_wait_kmcnt 0x0
	s_clause 0x1
	global_load_b64 v[42:43], v0, s[0:1]
	global_load_b64 v[44:45], v9, s[0:1] offset:2048
	v_and_b32_e32 v10, 0xff, v30
	v_lshrrev_b32_e32 v11, 5, v30
	v_mul_lo_u32 v0, v2, v5
	s_delay_alu instid0(VALU_DEP_3) | instskip(NEXT) | instid1(VALU_DEP_3)
	v_lshlrev_b32_e32 v9, 3, v10
	v_and_b32_e32 v10, 0x7f8, v11
	s_clause 0x1
	global_load_b64 v[46:47], v9, s[0:1]
	global_load_b64 v[48:49], v10, s[0:1] offset:2048
	v_and_b32_e32 v9, 0xff, v0
	v_lshrrev_b32_e32 v10, 5, v0
	v_and_b32_e32 v11, 0xff, v79
	v_lshrrev_b32_e32 v0, 13, v0
	s_delay_alu instid0(VALU_DEP_4) | instskip(NEXT) | instid1(VALU_DEP_4)
	v_lshlrev_b32_e32 v9, 3, v9
	v_and_b32_e32 v10, 0x7f8, v10
	s_clause 0x1
	global_load_b64 v[50:51], v9, s[0:1]
	global_load_b64 v[52:53], v10, s[0:1] offset:2048
	v_and_b32_e32 v9, 0xff, v78
	v_lshrrev_b32_e32 v10, 5, v78
	s_delay_alu instid0(VALU_DEP_2) | instskip(NEXT) | instid1(VALU_DEP_2)
	v_lshlrev_b32_e32 v9, 3, v9
	v_and_b32_e32 v10, 0x7f8, v10
	s_clause 0x1
	global_load_b64 v[54:55], v9, s[0:1]
	global_load_b64 v[56:57], v10, s[0:1] offset:2048
	v_lshlrev_b32_e32 v9, 3, v11
	v_add_nc_u32_e32 v11, 0x54, v3
	v_and_b32_e32 v10, 0x7f8, v12
	s_clause 0x1
	global_load_b64 v[58:59], v9, s[0:1]
	global_load_b64 v[60:61], v10, s[0:1] offset:2048
	v_mul_lo_u32 v81, v2, v11
	v_and_b32_e32 v9, 0xff, v80
	v_lshrrev_b32_e32 v10, 5, v80
	v_add_nc_u32_e32 v11, 0x54, v5
	v_add_nc_u32_e32 v12, 0x54, v7
	v_sub_nc_u32_e32 v5, v31, v5
	v_lshlrev_b32_e32 v9, 3, v9
	v_and_b32_e32 v10, 0x7f8, v10
	v_lshrrev_b32_e32 v13, 5, v81
	v_mul_lo_u32 v82, v2, v11
	s_clause 0x1
	global_load_b64 v[62:63], v9, s[0:1]
	global_load_b64 v[64:65], v10, s[0:1] offset:2048
	v_mul_lo_u32 v83, v2, v12
	v_and_b32_e32 v10, 0x7f8, v13
	v_add_nc_u32_e32 v13, 0x3000, v39
	v_sub_nc_u32_e32 v3, v32, v3
	v_add_nc_u32_e32 v5, v5, v31
	v_lshrrev_b32_e32 v12, 5, v83
	s_wait_loadcnt 0xa
	s_delay_alu instid0(VALU_DEP_3) | instskip(NEXT) | instid1(VALU_DEP_1)
	v_dual_mul_f32 v98, v42, v45 :: v_dual_add_nc_u32 v3, v3, v32
	v_dual_fmac_f32 v98, v43, v44 :: v_dual_and_b32 v11, 0xff, v81
	s_delay_alu instid0(VALU_DEP_1)
	v_lshlrev_b32_e32 v9, 3, v11
	v_and_b32_e32 v11, 0xff, v82
	s_clause 0x1
	global_load_b64 v[66:67], v9, s[0:1]
	global_load_b64 v[68:69], v10, s[0:1] offset:2048
	v_lshrrev_b32_e32 v9, 5, v82
	v_lshlrev_b32_e32 v10, 3, v11
	s_wait_loadcnt 0xa
	v_dual_mul_f32 v100, v46, v49 :: v_dual_and_b32 v11, 0xff, v83
	s_delay_alu instid0(VALU_DEP_1)
	v_dual_fmac_f32 v100, v47, v48 :: v_dual_and_b32 v9, 0x7f8, v9
	s_clause 0x1
	global_load_b64 v[70:71], v10, s[0:1]
	global_load_b64 v[72:73], v9, s[0:1] offset:2048
	v_lshlrev_b32_e32 v9, 3, v11
	v_and_b32_e32 v10, 0x7f8, v12
	s_clause 0x1
	global_load_b64 v[74:75], v9, s[0:1]
	global_load_b64 v[76:77], v10, s[0:1] offset:2048
	v_add_nc_u32_e32 v9, 0x3c00, v39
	ds_load_2addr_b64 v[13:16], v13 offset0:32 offset1:228
	ds_load_2addr_b64 v[9:12], v9 offset0:40 offset1:236
	s_wait_dscnt 0x1
	v_mul_f32_e32 v88, v22, v16
	v_mul_f32_e32 v90, v24, v14
	s_wait_dscnt 0x0
	v_mul_f32_e32 v84, v11, v18
	v_mul_f32_e32 v85, v12, v18
	;; [unrolled: 1-line block ×3, first 2 shown]
	v_fmac_f32_e32 v88, v21, v15
	v_fmac_f32_e32 v90, v23, v13
	v_fma_f32 v84, v12, v17, -v84
	v_fmac_f32_e32 v85, v11, v17
	v_mul_f32_e32 v17, v22, v15
	v_mul_f32_e32 v11, v20, v9
	v_fmac_f32_e32 v86, v19, v9
	v_mul_f32_e32 v15, v24, v13
	v_lshrrev_b32_e32 v13, 13, v92
	v_fma_f32 v89, v21, v16, -v17
	v_lshrrev_b32_e32 v21, 13, v30
	s_wait_loadcnt 0xc
	v_dual_mul_f32 v30, v50, v53 :: v_dual_add_nc_u32 v9, 0x2400, v39
	v_fma_f32 v87, v19, v10, -v11
	v_fma_f32 v91, v23, v14, -v15
	v_add_nc_u32_e32 v14, 0x54, v8
	s_delay_alu instid0(VALU_DEP_4)
	v_fmac_f32_e32 v30, v51, v52
	ds_load_2addr_b64 v[9:12], v9 offset0:24 offset1:220
	v_dual_mul_f32 v17, v47, v49 :: v_dual_and_b32 v6, 0x7f8, v6
	v_mul_lo_u32 v93, v2, v14
	v_and_b32_e32 v0, 0x7f8, v0
	v_lshrrev_b32_e32 v47, 13, v82
	s_delay_alu instid0(VALU_DEP_4) | instskip(SKIP_2) | instid1(VALU_DEP_3)
	v_fma_f32 v101, v46, v48, -v17
	v_lshrrev_b32_e32 v46, 13, v80
	s_wait_dscnt 0x0
	v_dual_mul_f32 v16, v27, v9 :: v_dual_and_b32 v49, 0x7f8, v47
	v_mul_f32_e32 v94, v27, v10
	v_mul_f32_e32 v14, v29, v11
	;; [unrolled: 1-line block ×3, first 2 shown]
	v_lshrrev_b32_e32 v27, 13, v81
	v_fma_f32 v95, v26, v10, -v16
	v_fmac_f32_e32 v94, v26, v9
	v_lshrrev_b32_e32 v26, 5, v92
	s_wait_loadcnt 0xa
	v_mul_f32_e32 v102, v54, v57
	v_fma_f32 v97, v28, v12, -v14
	v_fmac_f32_e32 v96, v28, v11
	v_dual_mul_f32 v12, v43, v45 :: v_dual_and_b32 v29, 0x7f8, v26
	s_delay_alu instid0(VALU_DEP_4)
	v_dual_fmac_f32 v102, v55, v56 :: v_dual_add_nc_u32 v15, 0x54, v25
	s_wait_loadcnt 0x8
	v_mul_f32_e32 v28, v59, v61
	v_mul_f32_e32 v61, v58, v61
	s_wait_loadcnt 0x6
	v_mul_f32_e32 v45, v63, v65
	v_mul_lo_u32 v2, v2, v15
	v_lshrrev_b32_e32 v11, 5, v93
	v_fma_f32 v58, v58, v60, -v28
	v_fmac_f32_e32 v61, v59, v60
	v_mul_f32_e32 v59, v62, v65
	v_fma_f32 v60, v62, v64, -v45
	v_fma_f32 v99, v42, v44, -v12
	v_and_b32_e32 v14, 0x7f8, v11
	v_and_b32_e32 v15, 0xff, v2
	v_fmac_f32_e32 v59, v63, v64
	v_lshrrev_b32_e32 v16, 5, v2
	v_lshrrev_b32_e32 v44, 13, v79
	;; [unrolled: 1-line block ×3, first 2 shown]
	v_lshlrev_b32_e32 v15, 3, v15
	v_sub_nc_u32_e32 v25, v34, v25
	v_and_b32_e32 v18, 0x7f8, v16
	s_delay_alu instid0(VALU_DEP_4) | instskip(SKIP_2) | instid1(VALU_DEP_1)
	v_and_b32_e32 v2, 0x7f8, v2
	s_wait_loadcnt 0x4
	v_mul_f32_e32 v62, v66, v69
	v_dual_fmac_f32 v62, v67, v68 :: v_dual_and_b32 v13, 0x7f8, v13
	global_load_b64 v[9:10], v13, s[0:1] offset:4096
	s_wait_loadcnt 0x3
	v_mul_f32_e32 v64, v70, v73
	s_delay_alu instid0(VALU_DEP_1) | instskip(NEXT) | instid1(VALU_DEP_1)
	v_dual_fmac_f32 v64, v71, v72 :: v_dual_and_b32 v13, 0xff, v93
	v_lshlrev_b32_e32 v13, 3, v13
	s_clause 0x3
	global_load_b64 v[11:12], v13, s[0:1]
	global_load_b64 v[13:14], v14, s[0:1] offset:2048
	global_load_b64 v[15:16], v15, s[0:1]
	global_load_b64 v[17:18], v18, s[0:1] offset:2048
	v_and_b32_e32 v21, 0x7f8, v21
	s_clause 0x2
	global_load_b64 v[19:20], v6, s[0:1] offset:4096
	global_load_b64 v[21:22], v21, s[0:1] offset:4096
	;; [unrolled: 1-line block ×3, first 2 shown]
	v_mul_f32_e32 v0, v55, v57
	v_mul_f32_e32 v6, v51, v53
	v_mul_f32_e32 v53, v71, v73
	s_delay_alu instid0(VALU_DEP_3) | instskip(SKIP_1) | instid1(VALU_DEP_4)
	v_fma_f32 v103, v54, v56, -v0
	v_and_b32_e32 v0, 0xff, v92
	v_fma_f32 v6, v50, v52, -v6
	v_and_b32_e32 v42, 0x7f8, v27
	v_and_b32_e32 v50, 0x7f8, v46
	v_lshrrev_b32_e32 v52, 13, v93
	v_lshlrev_b32_e32 v0, 3, v0
	s_clause 0x2
	global_load_b64 v[26:27], v0, s[0:1]
	global_load_b64 v[28:29], v29, s[0:1] offset:2048
	global_load_b64 v[42:43], v42, s[0:1] offset:4096
	v_lshrrev_b32_e32 v0, 13, v78
	v_and_b32_e32 v48, 0x7f8, v44
	s_clause 0x1
	global_load_b64 v[50:51], v50, s[0:1] offset:4096
	global_load_b64 v[56:57], v2, s[0:1] offset:4096
	v_fma_f32 v65, v70, v72, -v53
	v_and_b32_e32 v0, 0x7f8, v0
	s_clause 0x1
	global_load_b64 v[46:47], v48, s[0:1] offset:4096
	global_load_b64 v[44:45], v0, s[0:1] offset:4096
	v_mul_f32_e32 v0, v67, v69
	v_and_b32_e32 v54, 0x7f8, v52
	s_delay_alu instid0(VALU_DEP_2)
	v_fma_f32 v63, v66, v68, -v0
	v_lshrrev_b32_e32 v0, 13, v83
	global_load_b64 v[54:55], v54, s[0:1] offset:4096
	s_wait_loadcnt 0x10
	v_mul_f32_e32 v66, v74, v77
	v_and_b32_e32 v0, 0x7f8, v0
	s_delay_alu instid0(VALU_DEP_2) | instskip(SKIP_4) | instid1(VALU_DEP_1)
	v_fmac_f32_e32 v66, v75, v76
	s_clause 0x1
	global_load_b64 v[52:53], v0, s[0:1] offset:4096
	global_load_b64 v[48:49], v49, s[0:1] offset:4096
	v_mul_f32_e32 v0, v75, v77
	v_fma_f32 v67, v74, v76, -v0
	v_mul_u32_u24_e32 v0, 0x70, v32
	s_delay_alu instid0(VALU_DEP_1)
	v_add3_u32 v0, 0, v0, v38
	s_wait_loadcnt 0xf
	v_mul_f32_e32 v2, v12, v14
	v_mul_f32_e32 v68, v11, v14
	s_wait_loadcnt 0xd
	v_mul_f32_e32 v69, v15, v18
	s_wait_loadcnt 0xc
	v_mul_f32_e32 v71, v99, v20
	v_fma_f32 v38, v11, v13, -v2
	v_fmac_f32_e32 v68, v12, v13
	ds_load_b64 v[11:12], v0
	v_mul_f32_e32 v2, v16, v18
	v_mul_f32_e32 v18, v98, v20
	v_dual_fmac_f32 v71, v19, v98 :: v_dual_add_nc_u32 v0, 0xfffff9e0, v0
	v_fmac_f32_e32 v69, v16, v17
	s_delay_alu instid0(VALU_DEP_4)
	v_fma_f32 v70, v15, v17, -v2
	s_wait_loadcnt 0xb
	v_mul_f32_e32 v2, v100, v22
	v_mul_f32_e32 v22, v101, v22
	v_fma_f32 v72, v19, v99, -v18
	s_wait_loadcnt 0xa
	v_mul_f32_e32 v19, v30, v24
	ds_load_b64 v[13:14], v39
	ds_load_b64 v[17:18], v40
	v_fma_f32 v73, v21, v101, -v2
	v_fmac_f32_e32 v22, v21, v100
	v_mul_f32_e32 v21, v6, v24
	ds_load_b64 v[15:16], v0
	v_fma_f32 v6, v23, v6, -v19
	s_wait_loadcnt 0x8
	v_mul_f32_e32 v80, v26, v29
	s_wait_dscnt 0x3
	v_dual_sub_f32 v24, v12, v84 :: v_dual_fmac_f32 v21, v23, v30
	v_sub_f32_e32 v74, v11, v85
	s_delay_alu instid0(VALU_DEP_2) | instskip(SKIP_1) | instid1(VALU_DEP_3)
	v_fma_f32 v30, v12, 2.0, -v24
	v_add_nc_u32_e32 v2, 0x620, v41
	v_fma_f32 v75, v11, 2.0, -v74
	ds_load_b64 v[19:20], v2
	ds_load_b64 v[11:12], v41
	ds_load_b32 v23, v40
	ds_load_b32 v40, v0
	;; [unrolled: 1-line block ×4, first 2 shown]
	s_wait_dscnt 0x7
	v_sub_f32_e32 v79, v17, v88
	v_sub_f32_e32 v77, v14, v95
	s_wait_dscnt 0x6
	v_sub_f32_e32 v39, v15, v86
	v_mul_f32_e32 v15, v27, v29
	s_wait_loadcnt 0x7
	v_mul_f32_e32 v29, v63, v43
	v_sub_f32_e32 v13, v13, v94
	s_delay_alu instid0(VALU_DEP_3) | instskip(SKIP_1) | instid1(VALU_DEP_4)
	v_fma_f32 v81, v26, v28, -v15
	v_mul_f32_e32 v15, v62, v43
	v_fmac_f32_e32 v29, v42, v62
	s_wait_loadcnt 0x0
	v_mul_f32_e32 v17, v64, v49
	s_wait_dscnt 0x4
	v_sub_f32_e32 v83, v12, v97
	s_wait_dscnt 0x3
	v_fma_f32 v85, v23, 2.0, -v79
	v_sub_f32_e32 v26, v20, v91
	v_dual_sub_f32 v82, v19, v90 :: v_dual_mul_f32 v19, v58, v47
	v_dual_mul_f32 v23, v60, v51 :: v_dual_sub_f32 v84, v11, v96
	s_delay_alu instid0(VALU_DEP_3)
	v_fma_f32 v20, v20, 2.0, -v26
	v_mul_f32_e32 v11, v102, v45
	v_fma_f32 v86, v12, 2.0, -v83
	v_fmac_f32_e32 v19, v46, v61
	v_sub_f32_e32 v78, v18, v89
	v_dual_fmac_f32 v23, v50, v59 :: v_dual_mul_f32 v12, v103, v45
	s_wait_dscnt 0x2
	v_fma_f32 v40, v40, 2.0, -v39
	s_delay_alu instid0(VALU_DEP_3) | instskip(NEXT) | instid1(VALU_DEP_3)
	v_fma_f32 v18, v18, 2.0, -v78
	v_fmac_f32_e32 v12, v44, v102
	v_dual_sub_f32 v1, v16, v87 :: v_dual_add_nc_u32 v0, s6, v1
	v_fma_f32 v87, v44, v103, -v11
	v_mul_f32_e32 v11, v59, v51
	v_fma_f32 v51, v42, v63, -v15
	s_delay_alu instid0(VALU_DEP_4) | instskip(NEXT) | instid1(VALU_DEP_3)
	v_fma_f32 v16, v16, 2.0, -v1
	v_fma_f32 v43, v50, v60, -v11
	v_mul_f32_e32 v11, v30, v22
	ds_load_b32 v2, v2
	v_mul_f32_e32 v15, v16, v21
	v_fmac_f32_e32 v11, v75, v73
	s_delay_alu instid0(VALU_DEP_2) | instskip(SKIP_3) | instid1(VALU_DEP_1)
	v_fmac_f32_e32 v15, v40, v6
	s_wait_dscnt 0x0
	v_fma_f32 v45, v2, 2.0, -v82
	v_dual_mul_f32 v2, v61, v47 :: v_dual_mul_f32 v47, v66, v53
	v_fma_f32 v44, v46, v58, -v2
	v_mul_f32_e32 v46, v65, v49
	v_mul_f32_e32 v49, v67, v53
	;; [unrolled: 1-line block ×3, first 2 shown]
	v_fma_f32 v47, v52, v67, -v47
	s_delay_alu instid0(VALU_DEP_3)
	v_dual_fmac_f32 v49, v52, v66 :: v_dual_mul_f32 v52, v45, v19
	v_mul_f32_e32 v19, v20, v19
	v_dual_mul_f32 v50, v68, v55 :: v_dual_mul_f32 v55, v70, v57
	v_mul_f32_e32 v42, v69, v57
	v_fma_f32 v57, v48, v65, -v17
	v_dual_mul_f32 v17, v18, v12 :: v_dual_mul_f32 v58, v75, v22
	v_mul_f32_e32 v22, v40, v21
	v_fmac_f32_e32 v55, v56, v69
	v_fma_f32 v41, v41, 2.0, -v84
	v_dual_mul_f32 v21, v86, v23 :: v_dual_fmac_f32 v46, v48, v64
	v_dual_mul_f32 v2, v13, v71 :: v_dual_fmac_f32 v53, v54, v68
	v_mul_f32_e32 v59, v74, v29
	v_fmac_f32_e32 v17, v85, v87
	v_fmac_f32_e32 v19, v45, v44
	v_fma_f32 v50, v54, v38, -v50
	v_fma_f32 v54, v56, v70, -v42
	v_dual_mul_f32 v56, v41, v23 :: v_dual_mul_f32 v23, v24, v29
	v_fmac_f32_e32 v21, v41, v43
	v_mul_f32_e32 v29, v1, v46
	v_mul_f32_e32 v48, v85, v12
	v_fma_f32 v12, v30, v73, -v58
	v_mul_f32_e32 v30, v39, v46
	v_fmac_f32_e32 v80, v28, v27
	v_mul_f32_e32 v46, v82, v53
	v_fmac_f32_e32 v29, v39, v57
	v_mul_f32_e32 v40, v26, v53
	v_fma_f32 v30, v1, v57, -v30
	v_mul_f32_e32 v1, v77, v71
	v_fma_f32 v16, v16, v6, -v22
	;; [unrolled: 2-line block ×3, first 2 shown]
	v_fma_f32 v22, v86, v43, -v56
	v_mad_co_u64_u32 v[26:27], null, s4, v33, v[0:1]
	s_delay_alu instid0(VALU_DEP_4) | instskip(SKIP_4) | instid1(VALU_DEP_4)
	v_fma_f32 v39, v78, v47, -v6
	v_mul_f32_e32 v6, v10, v81
	v_dual_mul_f32 v10, v10, v80 :: v_dual_mov_b32 v27, v4
	v_fma_f32 v20, v20, v44, -v52
	v_fma_f32 v33, v76, 2.0, -v13
	v_fmac_f32_e32 v6, v9, v80
	s_delay_alu instid0(VALU_DEP_4) | instskip(SKIP_2) | instid1(VALU_DEP_4)
	v_fma_f32 v45, v9, v81, -v10
	v_dual_mul_f32 v44, v84, v55 :: v_dual_fmac_f32 v1, v13, v72
	v_fma_f32 v2, v77, v72, -v2
	v_mul_f32_e32 v10, v33, v6
	v_mul_f32_e32 v42, v83, v55
	s_delay_alu instid0(VALU_DEP_4)
	v_fma_f32 v43, v83, v54, -v44
	v_fma_f32 v44, v14, 2.0, -v77
	v_lshlrev_b64_e32 v[13:14], 3, v[26:27]
	v_mul_f32_e32 v38, v78, v49
	v_fmac_f32_e32 v42, v84, v54
	v_fmac_f32_e32 v40, v82, v50
	v_mul_f32_e32 v9, v44, v6
	v_add_nc_u32_e32 v6, v25, v34
	v_mad_co_u64_u32 v[25:26], null, s4, v37, v[0:1]
	v_mov_b32_e32 v26, v4
	v_add_co_u32 v13, vcc_lo, s2, v13
	s_delay_alu instid0(VALU_DEP_4) | instskip(SKIP_1) | instid1(VALU_DEP_4)
	v_mad_co_u64_u32 v[27:28], null, s4, v6, v[0:1]
	v_mov_b32_e32 v28, v4
	v_lshlrev_b64_e32 v[25:26], 3, v[25:26]
	v_add_nc_u32_e32 v6, 0x54, v6
	s_wait_alu 0xfffd
	v_add_co_ci_u32_e32 v14, vcc_lo, s3, v14, vcc_lo
	v_fmac_f32_e32 v9, v33, v45
	v_lshlrev_b64_e32 v[27:28], 3, v[27:28]
	v_add_co_u32 v25, vcc_lo, s2, v25
	v_mad_co_u64_u32 v[33:34], null, s4, v6, v[0:1]
	s_wait_alu 0xfffd
	v_add_co_ci_u32_e32 v26, vcc_lo, s3, v26, vcc_lo
	v_sub_nc_u32_e32 v6, v35, v8
	v_fma_f32 v10, v44, v45, -v10
	v_add_co_u32 v27, vcc_lo, s2, v27
	v_mov_b32_e32 v34, v4
	s_wait_alu 0xfffd
	v_add_co_ci_u32_e32 v28, vcc_lo, s3, v28, vcc_lo
	v_add_nc_u32_e32 v6, v6, v35
	s_clause 0x2
	global_store_b64 v[13:14], v[9:10], off
	global_store_b64 v[25:26], v[1:2], off
	;; [unrolled: 1-line block ×3, first 2 shown]
	v_lshlrev_b64_e32 v[1:2], 3, v[33:34]
	v_sub_nc_u32_e32 v10, v36, v7
	v_fma_f32 v18, v18, v87, -v48
	v_add_nc_u32_e32 v8, 0x54, v6
	v_fma_f32 v24, v24, v51, -v59
	v_fmac_f32_e32 v23, v74, v51
	v_mad_co_u64_u32 v[6:7], null, s4, v6, v[0:1]
	v_mov_b32_e32 v7, v4
	v_mad_co_u64_u32 v[8:9], null, s4, v8, v[0:1]
	v_add_co_u32 v1, vcc_lo, s2, v1
	v_add_nc_u32_e32 v10, v10, v36
	s_wait_alu 0xfffd
	v_add_co_ci_u32_e32 v2, vcc_lo, s3, v2, vcc_lo
	v_mov_b32_e32 v9, v4
	v_lshlrev_b64_e32 v[6:7], 3, v[6:7]
	v_mad_co_u64_u32 v[13:14], null, s4, v10, v[0:1]
	global_store_b64 v[1:2], v[42:43], off
	v_lshlrev_b64_e32 v[1:2], 3, v[8:9]
	v_mov_b32_e32 v14, v4
	v_add_co_u32 v6, vcc_lo, s2, v6
	s_wait_alu 0xfffd
	v_add_co_ci_u32_e32 v7, vcc_lo, s3, v7, vcc_lo
	v_add_nc_u32_e32 v10, 0x54, v10
	v_add_co_u32 v1, vcc_lo, s2, v1
	v_lshlrev_b64_e32 v[8:9], 3, v[13:14]
	s_wait_alu 0xfffd
	v_add_co_ci_u32_e32 v2, vcc_lo, s3, v2, vcc_lo
	s_delay_alu instid0(VALU_DEP_3) | instskip(SKIP_1) | instid1(VALU_DEP_4)
	v_mad_co_u64_u32 v[13:14], null, s4, v10, v[0:1]
	v_mov_b32_e32 v14, v4
	v_add_co_u32 v8, vcc_lo, s2, v8
	s_wait_alu 0xfffd
	v_add_co_ci_u32_e32 v9, vcc_lo, s3, v9, vcc_lo
	s_clause 0x2
	global_store_b64 v[6:7], v[19:20], off
	global_store_b64 v[1:2], v[40:41], off
	;; [unrolled: 1-line block ×3, first 2 shown]
	v_lshlrev_b64_e32 v[1:2], 3, v[13:14]
	v_add_nc_u32_e32 v13, 0x54, v3
	v_dual_fmac_f32 v38, v79, v47 :: v_dual_add_nc_u32 v7, 0x54, v5
	s_delay_alu instid0(VALU_DEP_3) | instskip(SKIP_1) | instid1(VALU_DEP_3)
	v_mad_co_u64_u32 v[5:6], null, s4, v5, v[0:1]
	v_mov_b32_e32 v6, v4
	v_mad_co_u64_u32 v[7:8], null, s4, v7, v[0:1]
	v_add_co_u32 v1, vcc_lo, s2, v1
	v_mov_b32_e32 v8, v4
	s_delay_alu instid0(VALU_DEP_4)
	v_lshlrev_b64_e32 v[5:6], 3, v[5:6]
	s_wait_alu 0xfffd
	v_add_co_ci_u32_e32 v2, vcc_lo, s3, v2, vcc_lo
	v_mad_co_u64_u32 v[9:10], null, s4, v3, v[0:1]
	v_lshlrev_b64_e32 v[7:8], 3, v[7:8]
	v_mov_b32_e32 v10, v4
	v_mad_co_u64_u32 v[13:14], null, s4, v13, v[0:1]
	v_add_co_u32 v5, vcc_lo, s2, v5
	v_mov_b32_e32 v14, v4
	s_wait_alu 0xfffd
	v_add_co_ci_u32_e32 v6, vcc_lo, s3, v6, vcc_lo
	v_lshlrev_b64_e32 v[9:10], 3, v[9:10]
	v_add_co_u32 v3, vcc_lo, s2, v7
	s_wait_alu 0xfffd
	v_add_co_ci_u32_e32 v4, vcc_lo, s3, v8, vcc_lo
	v_lshlrev_b64_e32 v[7:8], 3, v[13:14]
	s_delay_alu instid0(VALU_DEP_4) | instskip(SKIP_2) | instid1(VALU_DEP_3)
	v_add_co_u32 v9, vcc_lo, s2, v9
	s_wait_alu 0xfffd
	v_add_co_ci_u32_e32 v10, vcc_lo, s3, v10, vcc_lo
	v_add_co_u32 v7, vcc_lo, s2, v7
	s_wait_alu 0xfffd
	v_add_co_ci_u32_e32 v8, vcc_lo, s3, v8, vcc_lo
	s_clause 0x4
	global_store_b64 v[1:2], v[38:39], off
	global_store_b64 v[5:6], v[15:16], off
	;; [unrolled: 1-line block ×5, first 2 shown]
.LBB0_36:
	s_nop 0
	s_sendmsg sendmsg(MSG_DEALLOC_VGPRS)
	s_endpgm
	.section	.rodata,"a",@progbits
	.p2align	6, 0x0
	.amdhsa_kernel fft_rtc_back_len168_factors_3_4_7_2_wgs_196_tpt_14_dim3_sp_ip_CI_sbcc_twdbase8_3step_dirReg_intrinsicReadWrite
		.amdhsa_group_segment_fixed_size 0
		.amdhsa_private_segment_fixed_size 0
		.amdhsa_kernarg_size 88
		.amdhsa_user_sgpr_count 2
		.amdhsa_user_sgpr_dispatch_ptr 0
		.amdhsa_user_sgpr_queue_ptr 0
		.amdhsa_user_sgpr_kernarg_segment_ptr 1
		.amdhsa_user_sgpr_dispatch_id 0
		.amdhsa_user_sgpr_private_segment_size 0
		.amdhsa_wavefront_size32 1
		.amdhsa_uses_dynamic_stack 0
		.amdhsa_enable_private_segment 0
		.amdhsa_system_sgpr_workgroup_id_x 1
		.amdhsa_system_sgpr_workgroup_id_y 0
		.amdhsa_system_sgpr_workgroup_id_z 0
		.amdhsa_system_sgpr_workgroup_info 0
		.amdhsa_system_vgpr_workitem_id 0
		.amdhsa_next_free_vgpr 104
		.amdhsa_next_free_sgpr 26
		.amdhsa_reserve_vcc 1
		.amdhsa_float_round_mode_32 0
		.amdhsa_float_round_mode_16_64 0
		.amdhsa_float_denorm_mode_32 3
		.amdhsa_float_denorm_mode_16_64 3
		.amdhsa_fp16_overflow 0
		.amdhsa_workgroup_processor_mode 1
		.amdhsa_memory_ordered 1
		.amdhsa_forward_progress 0
		.amdhsa_round_robin_scheduling 0
		.amdhsa_exception_fp_ieee_invalid_op 0
		.amdhsa_exception_fp_denorm_src 0
		.amdhsa_exception_fp_ieee_div_zero 0
		.amdhsa_exception_fp_ieee_overflow 0
		.amdhsa_exception_fp_ieee_underflow 0
		.amdhsa_exception_fp_ieee_inexact 0
		.amdhsa_exception_int_div_zero 0
	.end_amdhsa_kernel
	.text
.Lfunc_end0:
	.size	fft_rtc_back_len168_factors_3_4_7_2_wgs_196_tpt_14_dim3_sp_ip_CI_sbcc_twdbase8_3step_dirReg_intrinsicReadWrite, .Lfunc_end0-fft_rtc_back_len168_factors_3_4_7_2_wgs_196_tpt_14_dim3_sp_ip_CI_sbcc_twdbase8_3step_dirReg_intrinsicReadWrite
                                        ; -- End function
	.section	.AMDGPU.csdata,"",@progbits
; Kernel info:
; codeLenInByte = 9068
; NumSgprs: 28
; NumVgprs: 104
; ScratchSize: 0
; MemoryBound: 0
; FloatMode: 240
; IeeeMode: 1
; LDSByteSize: 0 bytes/workgroup (compile time only)
; SGPRBlocks: 3
; VGPRBlocks: 12
; NumSGPRsForWavesPerEU: 28
; NumVGPRsForWavesPerEU: 104
; Occupancy: 12
; WaveLimiterHint : 1
; COMPUTE_PGM_RSRC2:SCRATCH_EN: 0
; COMPUTE_PGM_RSRC2:USER_SGPR: 2
; COMPUTE_PGM_RSRC2:TRAP_HANDLER: 0
; COMPUTE_PGM_RSRC2:TGID_X_EN: 1
; COMPUTE_PGM_RSRC2:TGID_Y_EN: 0
; COMPUTE_PGM_RSRC2:TGID_Z_EN: 0
; COMPUTE_PGM_RSRC2:TIDIG_COMP_CNT: 0
	.text
	.p2alignl 7, 3214868480
	.fill 96, 4, 3214868480
	.type	__hip_cuid_af6d6d5a2d7525fa,@object ; @__hip_cuid_af6d6d5a2d7525fa
	.section	.bss,"aw",@nobits
	.globl	__hip_cuid_af6d6d5a2d7525fa
__hip_cuid_af6d6d5a2d7525fa:
	.byte	0                               ; 0x0
	.size	__hip_cuid_af6d6d5a2d7525fa, 1

	.ident	"AMD clang version 19.0.0git (https://github.com/RadeonOpenCompute/llvm-project roc-6.4.0 25133 c7fe45cf4b819c5991fe208aaa96edf142730f1d)"
	.section	".note.GNU-stack","",@progbits
	.addrsig
	.addrsig_sym __hip_cuid_af6d6d5a2d7525fa
	.amdgpu_metadata
---
amdhsa.kernels:
  - .args:
      - .actual_access:  read_only
        .address_space:  global
        .offset:         0
        .size:           8
        .value_kind:     global_buffer
      - .address_space:  global
        .offset:         8
        .size:           8
        .value_kind:     global_buffer
      - .actual_access:  read_only
        .address_space:  global
        .offset:         16
        .size:           8
        .value_kind:     global_buffer
      - .actual_access:  read_only
        .address_space:  global
        .offset:         24
        .size:           8
        .value_kind:     global_buffer
      - .offset:         32
        .size:           8
        .value_kind:     by_value
      - .actual_access:  read_only
        .address_space:  global
        .offset:         40
        .size:           8
        .value_kind:     global_buffer
      - .actual_access:  read_only
        .address_space:  global
        .offset:         48
        .size:           8
        .value_kind:     global_buffer
      - .offset:         56
        .size:           4
        .value_kind:     by_value
      - .actual_access:  read_only
        .address_space:  global
        .offset:         64
        .size:           8
        .value_kind:     global_buffer
      - .actual_access:  read_only
        .address_space:  global
        .offset:         72
        .size:           8
        .value_kind:     global_buffer
      - .address_space:  global
        .offset:         80
        .size:           8
        .value_kind:     global_buffer
    .group_segment_fixed_size: 0
    .kernarg_segment_align: 8
    .kernarg_segment_size: 88
    .language:       OpenCL C
    .language_version:
      - 2
      - 0
    .max_flat_workgroup_size: 196
    .name:           fft_rtc_back_len168_factors_3_4_7_2_wgs_196_tpt_14_dim3_sp_ip_CI_sbcc_twdbase8_3step_dirReg_intrinsicReadWrite
    .private_segment_fixed_size: 0
    .sgpr_count:     28
    .sgpr_spill_count: 0
    .symbol:         fft_rtc_back_len168_factors_3_4_7_2_wgs_196_tpt_14_dim3_sp_ip_CI_sbcc_twdbase8_3step_dirReg_intrinsicReadWrite.kd
    .uniform_work_group_size: 1
    .uses_dynamic_stack: false
    .vgpr_count:     104
    .vgpr_spill_count: 0
    .wavefront_size: 32
    .workgroup_processor_mode: 1
amdhsa.target:   amdgcn-amd-amdhsa--gfx1201
amdhsa.version:
  - 1
  - 2
...

	.end_amdgpu_metadata
